;; amdgpu-corpus repo=ROCm/rocFFT kind=compiled arch=gfx1201 opt=O3
	.text
	.amdgcn_target "amdgcn-amd-amdhsa--gfx1201"
	.amdhsa_code_object_version 6
	.protected	fft_rtc_back_len17_factors_17_wgs_120_tpt_1_half_op_CI_CI_sbrc_aligned ; -- Begin function fft_rtc_back_len17_factors_17_wgs_120_tpt_1_half_op_CI_CI_sbrc_aligned
	.globl	fft_rtc_back_len17_factors_17_wgs_120_tpt_1_half_op_CI_CI_sbrc_aligned
	.p2align	8
	.type	fft_rtc_back_len17_factors_17_wgs_120_tpt_1_half_op_CI_CI_sbrc_aligned,@function
fft_rtc_back_len17_factors_17_wgs_120_tpt_1_half_op_CI_CI_sbrc_aligned: ; @fft_rtc_back_len17_factors_17_wgs_120_tpt_1_half_op_CI_CI_sbrc_aligned
; %bb.0:
	s_load_b256 s[4:11], s[0:1], 0x8
	s_mov_b64 s[34:35], 2
	s_wait_kmcnt 0x0
	s_load_b32 s2, s[6:7], 0x8
	s_load_b128 s[16:19], s[8:9], 0x0
	s_load_b128 s[12:15], s[10:11], 0x0
	s_wait_kmcnt 0x0
	s_add_co_i32 s2, s2, -1
	s_delay_alu instid0(SALU_CYCLE_1) | instskip(NEXT) | instid1(SALU_CYCLE_1)
	s_mul_hi_u32 s2, s2, 0x88888889
	s_lshr_b32 s2, s2, 6
	s_delay_alu instid0(SALU_CYCLE_1) | instskip(NEXT) | instid1(SALU_CYCLE_1)
	s_add_co_i32 s33, s2, 1
	s_cvt_f32_u32 s2, s33
	s_sub_co_i32 s3, 0, s33
	s_delay_alu instid0(SALU_CYCLE_2) | instskip(NEXT) | instid1(TRANS32_DEP_1)
	v_rcp_iflag_f32_e32 v1, s2
	v_readfirstlane_b32 s2, v1
	s_delay_alu instid0(VALU_DEP_1) | instskip(SKIP_1) | instid1(SALU_CYCLE_2)
	s_mul_f32 s2, s2, 0x4f7ffffe
	s_wait_alu 0xfffe
	s_cvt_u32_f32 s2, s2
	s_wait_alu 0xfffe
	s_delay_alu instid0(SALU_CYCLE_2)
	s_mul_i32 s3, s3, s2
	s_wait_alu 0xfffe
	s_mul_hi_u32 s3, s2, s3
	s_wait_alu 0xfffe
	s_add_co_i32 s2, s2, s3
	s_wait_alu 0xfffe
	s_mul_hi_u32 s2, ttmp9, s2
	s_wait_alu 0xfffe
	s_mul_i32 s3, s2, s33
	s_add_co_i32 s15, s2, 1
	s_wait_alu 0xfffe
	s_sub_co_i32 s3, ttmp9, s3
	s_wait_alu 0xfffe
	s_sub_co_i32 s19, s3, s33
	s_cmp_ge_u32 s3, s33
	s_cselect_b32 s2, s15, s2
	s_cselect_b32 s3, s19, s3
	s_wait_alu 0xfffe
	s_add_co_i32 s15, s2, 1
	s_cmp_ge_u32 s3, s33
	s_mov_b32 s3, 0
	s_cselect_b32 s24, s15, s2
	v_cmp_gt_u64_e64 s2, s[4:5], 2
	s_mul_i32 s15, s24, s33
	s_wait_alu 0xfffe
	s_mov_b32 s23, s3
	s_sub_co_i32 s15, ttmp9, s15
	s_delay_alu instid0(SALU_CYCLE_1)
	s_mul_i32 s22, s15, 0x78
	s_and_b32 vcc_lo, exec_lo, s2
	s_mul_i32 s2, s22, s18
	s_mul_u64 s[20:21], s[12:13], s[22:23]
	s_cbranch_vccz .LBB0_8
; %bb.1:
	s_mov_b32 s28, ttmp9
	s_mov_b32 s29, s3
	s_mov_b32 s30, 3
	s_wait_alu 0xfffe
	s_mov_b64 s[26:27], s[2:3]
	s_mov_b32 s2, s24
.LBB0_2:                                ; =>This Inner Loop Header: Depth=1
	s_lshl_b64 s[34:35], s[34:35], 3
	s_mov_b32 s36, s3
	s_add_nc_u64 s[24:25], s[6:7], s[34:35]
	s_load_b64 s[24:25], s[24:25], 0x0
	s_wait_kmcnt 0x0
	s_mov_b32 s37, s25
	s_delay_alu instid0(SALU_CYCLE_1)
	s_cmp_lg_u64 s[36:37], 0
	s_cbranch_scc0 .LBB0_7
; %bb.3:                                ;   in Loop: Header=BB0_2 Depth=1
	s_cvt_f32_u32 s15, s24
	s_cvt_f32_u32 s19, s25
	s_sub_nc_u64 s[40:41], 0, s[24:25]
	s_mov_b32 s37, 0
	s_mov_b32 s45, s3
	s_wait_alu 0xfffe
	s_fmamk_f32 s15, s19, 0x4f800000, s15
	s_wait_alu 0xfffe
	s_delay_alu instid0(SALU_CYCLE_2) | instskip(NEXT) | instid1(TRANS32_DEP_1)
	v_s_rcp_f32 s15, s15
	s_mul_f32 s15, s15, 0x5f7ffffc
	s_wait_alu 0xfffe
	s_delay_alu instid0(SALU_CYCLE_2) | instskip(NEXT) | instid1(SALU_CYCLE_3)
	s_mul_f32 s19, s15, 0x2f800000
	s_trunc_f32 s19, s19
	s_delay_alu instid0(SALU_CYCLE_3) | instskip(SKIP_2) | instid1(SALU_CYCLE_1)
	s_fmamk_f32 s15, s19, 0xcf800000, s15
	s_cvt_u32_f32 s39, s19
	s_wait_alu 0xfffe
	s_cvt_u32_f32 s38, s15
	s_wait_alu 0xfffe
	s_delay_alu instid0(SALU_CYCLE_2)
	s_mul_u64 s[42:43], s[40:41], s[38:39]
	s_wait_alu 0xfffe
	s_mul_hi_u32 s47, s38, s43
	s_mul_i32 s46, s38, s43
	s_mul_hi_u32 s36, s38, s42
	s_mul_i32 s19, s39, s42
	s_add_nc_u64 s[46:47], s[36:37], s[46:47]
	s_mul_hi_u32 s15, s39, s42
	s_mul_hi_u32 s23, s39, s43
	s_add_co_u32 s19, s46, s19
	s_wait_alu 0xfffe
	s_add_co_ci_u32 s44, s47, s15
	s_mul_i32 s42, s39, s43
	s_add_co_ci_u32 s43, s23, 0
	s_wait_alu 0xfffe
	s_add_nc_u64 s[42:43], s[44:45], s[42:43]
	s_wait_alu 0xfffe
	v_add_co_u32 v1, s15, s38, s42
	s_delay_alu instid0(VALU_DEP_1) | instskip(SKIP_1) | instid1(VALU_DEP_1)
	s_cmp_lg_u32 s15, 0
	s_add_co_ci_u32 s39, s39, s43
	v_readfirstlane_b32 s38, v1
	s_mov_b32 s43, s3
	s_wait_alu 0xfffe
	s_delay_alu instid0(VALU_DEP_1)
	s_mul_u64 s[40:41], s[40:41], s[38:39]
	s_wait_alu 0xfffe
	s_mul_hi_u32 s45, s38, s41
	s_mul_i32 s44, s38, s41
	s_mul_hi_u32 s36, s38, s40
	s_mul_i32 s19, s39, s40
	s_add_nc_u64 s[44:45], s[36:37], s[44:45]
	s_mul_hi_u32 s15, s39, s40
	s_mul_hi_u32 s23, s39, s41
	s_add_co_u32 s19, s44, s19
	s_wait_alu 0xfffe
	s_add_co_ci_u32 s42, s45, s15
	s_mul_i32 s40, s39, s41
	s_add_co_ci_u32 s41, s23, 0
	s_wait_alu 0xfffe
	s_add_nc_u64 s[40:41], s[42:43], s[40:41]
	s_mov_b32 s42, s3
	s_wait_alu 0xfffe
	v_add_co_u32 v1, s15, v1, s40
	s_delay_alu instid0(VALU_DEP_1) | instskip(SKIP_1) | instid1(VALU_DEP_1)
	s_cmp_lg_u32 s15, 0
	s_add_co_ci_u32 s19, s39, s41
	v_readfirstlane_b32 s15, v1
	s_mul_hi_u32 s41, s2, s19
	s_mul_i32 s40, s2, s19
	s_mov_b32 s39, s3
	s_delay_alu instid0(VALU_DEP_1)
	s_mul_hi_u32 s36, s2, s15
	s_wait_alu 0xfffe
	s_add_nc_u64 s[40:41], s[36:37], s[40:41]
	s_wait_alu 0xfffe
	s_mov_b32 s38, s41
	s_wait_alu 0xfffe
	s_or_b64 s[38:39], s[38:39], s[42:43]
	s_mov_b32 s38, s41
	s_wait_alu 0xfffe
	s_mul_u64 s[42:43], s[24:25], s[38:39]
	s_add_nc_u64 s[44:45], s[38:39], 1
	s_wait_alu 0xfffe
	v_sub_co_u32 v1, s15, s2, s42
	s_sub_co_i32 s19, 0, s43
	s_cmp_lg_u32 s15, 0
	s_add_nc_u64 s[46:47], s[38:39], 2
	s_delay_alu instid0(VALU_DEP_1) | instskip(SKIP_2) | instid1(VALU_DEP_1)
	v_sub_co_u32 v2, s23, v1, s24
	s_sub_co_ci_u32 s19, s19, s25
	s_cmp_lg_u32 s23, 0
	v_readfirstlane_b32 s23, v2
	s_sub_co_ci_u32 s19, s19, 0
	s_delay_alu instid0(SALU_CYCLE_1) | instskip(SKIP_1) | instid1(VALU_DEP_1)
	s_cmp_ge_u32 s19, s25
	s_cselect_b32 s31, -1, 0
	s_cmp_ge_u32 s23, s24
	s_cselect_b32 s23, -1, 0
	s_cmp_eq_u32 s19, s25
	s_wait_alu 0xfffe
	s_cselect_b32 s19, s23, s31
	s_delay_alu instid0(SALU_CYCLE_1)
	s_cmp_lg_u32 s19, 0
	s_cselect_b32 s19, s46, s44
	s_cselect_b32 s23, s47, s45
	s_cmp_lg_u32 s15, 0
	v_readfirstlane_b32 s15, v1
	s_sub_co_ci_u32 s31, 0, s43
	s_wait_alu 0xfffe
	s_cmp_ge_u32 s31, s25
	s_cselect_b32 s36, -1, 0
	s_cmp_ge_u32 s15, s24
	s_cselect_b32 s15, -1, 0
	s_cmp_eq_u32 s31, s25
	s_wait_alu 0xfffe
	s_cselect_b32 s15, s15, s36
	s_wait_alu 0xfffe
	s_cmp_lg_u32 s15, 0
	s_cselect_b32 s39, s23, s39
	s_cselect_b32 s38, s19, s41
	s_cbranch_execnz .LBB0_5
.LBB0_4:                                ;   in Loop: Header=BB0_2 Depth=1
	v_cvt_f32_u32_e32 v1, s24
	s_sub_co_i32 s19, 0, s24
	s_mov_b32 s39, s3
	s_delay_alu instid0(VALU_DEP_1) | instskip(NEXT) | instid1(TRANS32_DEP_1)
	v_rcp_iflag_f32_e32 v1, v1
	v_mul_f32_e32 v1, 0x4f7ffffe, v1
	s_delay_alu instid0(VALU_DEP_1) | instskip(NEXT) | instid1(VALU_DEP_1)
	v_cvt_u32_f32_e32 v1, v1
	v_readfirstlane_b32 s15, v1
	s_delay_alu instid0(VALU_DEP_1) | instskip(NEXT) | instid1(SALU_CYCLE_1)
	s_mul_i32 s19, s19, s15
	s_mul_hi_u32 s19, s15, s19
	s_delay_alu instid0(SALU_CYCLE_1)
	s_add_co_i32 s15, s15, s19
	s_wait_alu 0xfffe
	s_mul_hi_u32 s15, s2, s15
	s_wait_alu 0xfffe
	s_mul_i32 s19, s15, s24
	s_add_co_i32 s23, s15, 1
	s_sub_co_i32 s19, s2, s19
	s_delay_alu instid0(SALU_CYCLE_1)
	s_sub_co_i32 s31, s19, s24
	s_cmp_ge_u32 s19, s24
	s_cselect_b32 s15, s23, s15
	s_wait_alu 0xfffe
	s_cselect_b32 s19, s31, s19
	s_add_co_i32 s23, s15, 1
	s_cmp_ge_u32 s19, s24
	s_cselect_b32 s38, s23, s15
.LBB0_5:                                ;   in Loop: Header=BB0_2 Depth=1
	s_add_nc_u64 s[36:37], s[8:9], s[34:35]
	s_add_nc_u64 s[34:35], s[10:11], s[34:35]
	s_load_b64 s[36:37], s[36:37], 0x0
	s_load_b64 s[40:41], s[34:35], 0x0
	s_mov_b32 s31, s3
	s_mul_u64 s[34:35], s[38:39], s[24:25]
	s_wait_alu 0xfffe
	v_cmp_ge_u64_e64 s15, s[30:31], s[4:5]
	s_mul_i32 s33, s33, s24
	s_sub_nc_u64 s[24:25], s[2:3], s[34:35]
	s_mov_b64 s[34:35], s[30:31]
	s_add_co_i32 s30, s30, 1
	s_delay_alu instid0(VALU_DEP_1)
	s_and_b32 vcc_lo, exec_lo, s15
	s_wait_kmcnt 0x0
	s_wait_alu 0xfffe
	s_mul_u64 s[36:37], s[36:37], s[24:25]
	s_mul_u64 s[24:25], s[40:41], s[24:25]
	s_add_nc_u64 s[26:27], s[36:37], s[26:27]
	s_wait_alu 0xfffe
	s_add_nc_u64 s[20:21], s[24:25], s[20:21]
	s_cbranch_vccnz .LBB0_9
; %bb.6:                                ;   in Loop: Header=BB0_2 Depth=1
	s_mov_b32 s2, s38
	s_branch .LBB0_2
.LBB0_7:                                ;   in Loop: Header=BB0_2 Depth=1
                                        ; implicit-def: $sgpr38_sgpr39
	s_branch .LBB0_4
.LBB0_8:
	s_wait_alu 0xfffe
	s_mov_b64 s[26:27], s[2:3]
	s_branch .LBB0_10
.LBB0_9:
	s_cvt_f32_u32 s2, s33
	s_sub_co_i32 s3, 0, s33
	s_wait_alu 0xfffe
	s_delay_alu instid0(SALU_CYCLE_1) | instskip(NEXT) | instid1(TRANS32_DEP_1)
	v_rcp_iflag_f32_e32 v1, s2
	v_readfirstlane_b32 s2, v1
	s_delay_alu instid0(VALU_DEP_1) | instskip(SKIP_1) | instid1(SALU_CYCLE_2)
	s_mul_f32 s2, s2, 0x4f7ffffe
	s_wait_alu 0xfffe
	s_cvt_u32_f32 s2, s2
	s_wait_alu 0xfffe
	s_delay_alu instid0(SALU_CYCLE_2)
	s_mul_i32 s3, s3, s2
	s_wait_alu 0xfffe
	s_mul_hi_u32 s6, s2, s3
	s_mov_b32 s3, 0
	s_add_co_i32 s2, s2, s6
	s_wait_alu 0xfffe
	s_mul_u64 s[2:3], s[28:29], s[2:3]
	s_wait_alu 0xfffe
	s_mul_i32 s2, s3, s33
	s_add_co_i32 s6, s3, 1
	s_wait_alu 0xfffe
	s_sub_co_i32 s2, ttmp9, s2
	s_wait_alu 0xfffe
	s_sub_co_i32 s7, s2, s33
	s_cmp_ge_u32 s2, s33
	s_cselect_b32 s3, s6, s3
	s_cselect_b32 s2, s7, s2
	s_wait_alu 0xfffe
	s_add_co_i32 s6, s3, 1
	s_cmp_ge_u32 s2, s33
	s_cselect_b32 s24, s6, s3
.LBB0_10:
	v_add_nc_u32_e32 v2, 0x78, v0
	v_mul_u32_u24_e32 v1, 0xf10, v0
	v_add_nc_u32_e32 v11, 0x168, v0
	v_add_nc_u32_e32 v5, 0xf0, v0
	s_lshl_b64 s[4:5], s[4:5], 3
	v_mul_u32_u24_e32 v3, 0xf10, v2
	v_lshrrev_b32_e32 v1, 16, v1
	v_mul_u32_u24_e32 v6, 0xf10, v11
	s_wait_alu 0xfffe
	s_add_nc_u64 s[6:7], s[8:9], s[4:5]
	s_load_b128 s[0:3], s[0:1], 0x58
	v_lshrrev_b32_e32 v12, 16, v3
	v_mul_lo_u16 v4, v1, 17
	v_lshrrev_b32_e32 v14, 16, v6
	v_mul_lo_u32 v1, s18, v1
	s_load_b64 s[6:7], s[6:7], 0x0
	v_mul_lo_u16 v7, v12, 17
	v_sub_nc_u16 v3, v0, v4
	v_mul_lo_u16 v15, v14, 17
	s_mov_b32 s25, 0
	s_lshl_b64 s[8:9], s[26:27], 2
	v_sub_nc_u16 v6, v2, v7
	v_mov_b32_e32 v2, 0
	v_mul_u32_u24_e32 v4, 0xf10, v5
	v_and_b32_e32 v9, 0xffff, v3
	v_add_nc_u32_e32 v19, 0x258, v0
	v_and_b32_e32 v16, 0xffff, v6
	v_add_nc_u32_e32 v25, 0x3c0, v0
	v_lshrrev_b32_e32 v13, 16, v4
	v_mad_co_u64_u32 v[3:4], null, s16, v9, 0
	v_add_nc_u32_e32 v28, 0x438, v0
	s_delay_alu instid0(VALU_DEP_3) | instskip(SKIP_3) | instid1(SALU_CYCLE_1)
	v_mul_lo_u16 v7, v13, 17
	s_wait_kmcnt 0x0
	s_wait_alu 0xfffe
	s_mul_u64 s[6:7], s[6:7], s[24:25]
	s_lshl_b64 s[6:7], s[6:7], 2
	v_sub_nc_u16 v10, v5, v7
	v_lshlrev_b64_e32 v[5:6], 2, v[1:2]
	v_mov_b32_e32 v1, v4
	v_sub_nc_u16 v4, v11, v15
	v_mad_co_u64_u32 v[7:8], null, s16, v16, 0
	v_and_b32_e32 v17, 0xffff, v10
	s_delay_alu instid0(VALU_DEP_4) | instskip(NEXT) | instid1(VALU_DEP_4)
	v_mad_co_u64_u32 v[9:10], null, s17, v9, v[1:2]
	v_and_b32_e32 v15, 0xffff, v4
	s_add_nc_u64 s[0:1], s[0:1], s[6:7]
	s_delay_alu instid0(VALU_DEP_3) | instskip(SKIP_2) | instid1(VALU_DEP_4)
	v_mad_co_u64_u32 v[10:11], null, s16, v17, 0
	s_add_nc_u64 s[0:1], s[0:1], s[8:9]
	v_mul_lo_u32 v1, s18, v12
	v_mov_b32_e32 v4, v9
	v_mad_co_u64_u32 v[8:9], null, s17, v16, v[8:9]
	s_delay_alu instid0(VALU_DEP_4) | instskip(NEXT) | instid1(VALU_DEP_3)
	v_dual_mov_b32 v9, v11 :: v_dual_add_nc_u32 v16, 0x1e0, v0
	v_lshlrev_b64_e32 v[3:4], 2, v[3:4]
	s_delay_alu instid0(VALU_DEP_2) | instskip(NEXT) | instid1(VALU_DEP_2)
	v_mad_co_u64_u32 v[11:12], null, s17, v17, v[9:10]
	v_add_co_u32 v9, vcc_lo, s0, v3
	s_delay_alu instid0(VALU_DEP_3) | instskip(SKIP_1) | instid1(VALU_DEP_3)
	v_add_co_ci_u32_e32 v12, vcc_lo, s1, v4, vcc_lo
	v_lshlrev_b64_e32 v[3:4], 2, v[7:8]
	v_add_co_u32 v5, vcc_lo, v9, v5
	s_wait_alu 0xfffd
	s_delay_alu instid0(VALU_DEP_3) | instskip(SKIP_1) | instid1(VALU_DEP_4)
	v_add_co_ci_u32_e32 v6, vcc_lo, v12, v6, vcc_lo
	v_mul_u32_u24_e32 v17, 0xf10, v16
	v_add_co_u32 v9, vcc_lo, s0, v3
	s_wait_alu 0xfffd
	v_add_co_ci_u32_e32 v12, vcc_lo, s1, v4, vcc_lo
	v_lshlrev_b64_e32 v[3:4], 2, v[1:2]
	v_mad_co_u64_u32 v[7:8], null, s16, v15, 0
	v_lshrrev_b32_e32 v18, 16, v17
	v_mul_lo_u32 v1, s18, v13
	s_delay_alu instid0(VALU_DEP_4) | instskip(SKIP_1) | instid1(VALU_DEP_4)
	v_add_co_u32 v3, vcc_lo, v9, v3
	v_lshlrev_b64_e32 v[9:10], 2, v[10:11]
	v_mul_lo_u16 v17, v18, 17
	s_wait_alu 0xfffd
	v_add_co_ci_u32_e32 v4, vcc_lo, v12, v4, vcc_lo
	s_delay_alu instid0(VALU_DEP_3)
	v_mad_co_u64_u32 v[11:12], null, s17, v15, v[8:9]
	v_mul_u32_u24_e32 v15, 0xf10, v19
	v_lshlrev_b64_e32 v[12:13], 2, v[1:2]
	v_sub_nc_u16 v1, v16, v17
	v_add_co_u32 v9, vcc_lo, s0, v9
	s_wait_alu 0xfffd
	v_add_co_ci_u32_e32 v10, vcc_lo, s1, v10, vcc_lo
	v_lshrrev_b32_e32 v20, 16, v15
	v_and_b32_e32 v16, 0xffff, v1
	v_add_co_u32 v9, vcc_lo, v9, v12
	v_mov_b32_e32 v8, v11
	s_wait_alu 0xfffd
	v_add_co_ci_u32_e32 v10, vcc_lo, v10, v13, vcc_lo
	v_mul_lo_u16 v13, v20, 17
	v_mad_co_u64_u32 v[11:12], null, s16, v16, 0
	v_lshlrev_b64_e32 v[7:8], 2, v[7:8]
	v_mul_lo_u32 v1, s18, v14
	s_delay_alu instid0(VALU_DEP_4) | instskip(SKIP_1) | instid1(VALU_DEP_4)
	v_sub_nc_u16 v14, v19, v13
	v_add_nc_u32_e32 v19, 0x2d0, v0
	v_add_co_u32 v17, vcc_lo, s0, v7
	s_delay_alu instid0(VALU_DEP_3) | instskip(SKIP_1) | instid1(VALU_DEP_4)
	v_dual_mov_b32 v7, v12 :: v_dual_and_b32 v22, 0xffff, v14
	v_lshlrev_b64_e32 v[12:13], 2, v[1:2]
	v_mul_u32_u24_e32 v1, 0xf10, v19
	s_wait_alu 0xfffd
	v_add_co_ci_u32_e32 v21, vcc_lo, s1, v8, vcc_lo
	v_mad_co_u64_u32 v[7:8], null, s17, v16, v[7:8]
	v_mad_co_u64_u32 v[14:15], null, s16, v22, 0
	v_lshrrev_b32_e32 v23, 16, v1
	v_add_co_u32 v16, vcc_lo, v17, v12
	s_wait_alu 0xfffd
	v_add_co_ci_u32_e32 v17, vcc_lo, v21, v13, vcc_lo
	s_delay_alu instid0(VALU_DEP_4) | instskip(SKIP_3) | instid1(VALU_DEP_4)
	v_dual_mov_b32 v12, v7 :: v_dual_mov_b32 v7, v15
	v_mul_lo_u32 v1, s18, v18
	v_mul_lo_u16 v13, v23, 17
	v_add_nc_u32_e32 v18, 0x348, v0
	v_lshlrev_b64_e32 v[11:12], 2, v[11:12]
	v_mad_co_u64_u32 v[7:8], null, s17, v22, v[7:8]
	s_delay_alu instid0(VALU_DEP_4) | instskip(NEXT) | instid1(VALU_DEP_4)
	v_sub_nc_u16 v8, v19, v13
	v_mul_u32_u24_e32 v13, 0xf10, v18
	s_delay_alu instid0(VALU_DEP_4) | instskip(SKIP_2) | instid1(VALU_DEP_3)
	v_add_co_u32 v19, vcc_lo, s0, v11
	s_wait_alu 0xfffd
	v_add_co_ci_u32_e32 v21, vcc_lo, s1, v12, vcc_lo
	v_lshrrev_b32_e32 v24, 16, v13
	v_lshlrev_b64_e32 v[11:12], 2, v[1:2]
	v_and_b32_e32 v22, 0xffff, v8
	v_mul_lo_u32 v1, s18, v20
	v_mov_b32_e32 v15, v7
	v_mul_lo_u16 v13, v24, 17
	v_add_co_u32 v11, vcc_lo, v19, v11
	v_mad_co_u64_u32 v[7:8], null, s16, v22, 0
	s_delay_alu instid0(VALU_DEP_3)
	v_sub_nc_u16 v20, v18, v13
	s_wait_alu 0xfffd
	v_add_co_ci_u32_e32 v12, vcc_lo, v21, v12, vcc_lo
	v_mul_u32_u24_e32 v21, 0xf10, v25
	v_lshlrev_b64_e32 v[13:14], 2, v[14:15]
	v_and_b32_e32 v26, 0xffff, v20
	v_lshlrev_b64_e32 v[18:19], 2, v[1:2]
	s_delay_alu instid0(VALU_DEP_4) | instskip(SKIP_1) | instid1(VALU_DEP_4)
	v_lshrrev_b32_e32 v27, 16, v21
	v_mad_co_u64_u32 v[20:21], null, s17, v22, v[8:9]
	v_mad_co_u64_u32 v[21:22], null, s16, v26, 0
	s_delay_alu instid0(VALU_DEP_3)
	v_mul_lo_u16 v1, v27, 17
	v_add_co_u32 v13, vcc_lo, s0, v13
	s_wait_alu 0xfffd
	v_add_co_ci_u32_e32 v14, vcc_lo, s1, v14, vcc_lo
	v_mov_b32_e32 v8, v20
	v_sub_nc_u16 v20, v25, v1
	v_mov_b32_e32 v15, v22
	v_add_co_u32 v13, vcc_lo, v13, v18
	v_mul_lo_u32 v1, s18, v23
	s_delay_alu instid0(VALU_DEP_4)
	v_and_b32_e32 v23, 0xffff, v20
	v_lshlrev_b64_e32 v[7:8], 2, v[7:8]
	s_wait_alu 0xfffd
	v_add_co_ci_u32_e32 v14, vcc_lo, v14, v19, vcc_lo
	v_mad_co_u64_u32 v[18:19], null, s17, v26, v[15:16]
	v_mad_co_u64_u32 v[19:20], null, s16, v23, 0
	s_delay_alu instid0(VALU_DEP_4)
	v_add_co_u32 v25, vcc_lo, s0, v7
	s_wait_alu 0xfffd
	v_add_co_ci_u32_e32 v26, vcc_lo, s1, v8, vcc_lo
	v_lshlrev_b64_e32 v[7:8], 2, v[1:2]
	v_mov_b32_e32 v22, v18
	v_mul_u32_u24_e32 v18, 0xf10, v28
	v_mul_lo_u32 v1, s18, v24
	v_mov_b32_e32 v15, v20
	v_add_co_u32 v7, vcc_lo, v25, v7
	s_delay_alu instid0(VALU_DEP_4) | instskip(SKIP_1) | instid1(VALU_DEP_4)
	v_lshrrev_b32_e32 v25, 16, v18
	v_lshlrev_b64_e32 v[20:21], 2, v[21:22]
	v_mad_co_u64_u32 v[22:23], null, s17, v23, v[15:16]
	v_lshlrev_b64_e32 v[23:24], 2, v[1:2]
	s_delay_alu instid0(VALU_DEP_4)
	v_mul_lo_u16 v1, v25, 17
	v_add_nc_u32_e32 v15, 0x4b0, v0
	s_wait_alu 0xfffd
	v_add_co_ci_u32_e32 v8, vcc_lo, v26, v8, vcc_lo
	v_add_co_u32 v18, vcc_lo, s0, v20
	v_sub_nc_u16 v1, v28, v1
	v_mul_u32_u24_e32 v28, 0xf10, v15
	s_wait_alu 0xfffd
	v_add_co_ci_u32_e32 v26, vcc_lo, s1, v21, vcc_lo
	v_add_co_u32 v21, vcc_lo, v18, v23
	v_mov_b32_e32 v20, v22
	v_lshrrev_b32_e32 v28, 16, v28
	s_wait_alu 0xfffd
	v_add_co_ci_u32_e32 v22, vcc_lo, v26, v24, vcc_lo
	v_and_b32_e32 v26, 0xffff, v1
	v_mul_lo_u32 v1, s18, v27
	v_lshlrev_b64_e32 v[18:19], 2, v[19:20]
	v_mul_lo_u16 v20, v28, 17
	s_clause 0x7
	global_load_b32 v29, v[5:6], off
	global_load_b32 v30, v[3:4], off
	;; [unrolled: 1-line block ×8, first 2 shown]
	v_mad_co_u64_u32 v[23:24], null, s16, v26, 0
	v_add_nc_u32_e32 v12, 0x528, v0
	v_sub_nc_u16 v6, v15, v20
	v_lshlrev_b64_e32 v[4:5], 2, v[1:2]
	v_add_co_u32 v9, vcc_lo, s0, v18
	s_delay_alu instid0(VALU_DEP_4)
	v_mul_u32_u24_e32 v1, 0xf10, v12
	v_mov_b32_e32 v3, v24
	v_and_b32_e32 v11, 0xffff, v6
	s_wait_alu 0xfffd
	v_add_co_ci_u32_e32 v10, vcc_lo, s1, v19, vcc_lo
	v_add_nc_u32_e32 v13, 0x5a0, v0
	v_mad_co_u64_u32 v[6:7], null, s17, v26, v[3:4]
	v_mad_co_u64_u32 v[7:8], null, s16, v11, 0
	v_lshrrev_b32_e32 v16, 16, v1
	v_add_co_u32 v3, vcc_lo, v9, v4
	s_wait_alu 0xfffd
	v_add_co_ci_u32_e32 v4, vcc_lo, v10, v5, vcc_lo
	v_mul_u32_u24_e32 v14, 0xf10, v13
	v_mov_b32_e32 v5, v8
	v_mul_lo_u16 v10, v16, 17
	v_mov_b32_e32 v24, v6
	v_mul_lo_u32 v1, s18, v25
	v_lshrrev_b32_e32 v17, 16, v14
	v_mad_co_u64_u32 v[5:6], null, s17, v11, v[5:6]
	v_sub_nc_u16 v6, v12, v10
	v_lshlrev_b64_e32 v[8:9], 2, v[23:24]
	s_delay_alu instid0(VALU_DEP_4)
	v_mul_lo_u16 v15, v17, 17
	v_add_nc_u32_e32 v19, 0x618, v0
	v_add_nc_u32_e32 v21, 0x708, v0
	v_and_b32_e32 v14, 0xffff, v6
	v_or_b32_e32 v23, 0x780, v0
	v_add_co_u32 v11, vcc_lo, s0, v8
	v_mov_b32_e32 v8, v5
	v_sub_nc_u16 v13, v13, v15
	s_wait_alu 0xfffd
	v_add_co_ci_u32_e32 v12, vcc_lo, s1, v9, vcc_lo
	v_lshlrev_b64_e32 v[9:10], 2, v[1:2]
	v_mad_co_u64_u32 v[5:6], null, s16, v14, 0
	v_mul_lo_u32 v1, s18, v28
	v_lshlrev_b64_e32 v[7:8], 2, v[7:8]
	v_and_b32_e32 v18, 0xffff, v13
	v_add_co_u32 v9, vcc_lo, v11, v9
	s_wait_alu 0xfffd
	v_add_co_ci_u32_e32 v10, vcc_lo, v12, v10, vcc_lo
	s_delay_alu instid0(VALU_DEP_4) | instskip(SKIP_4) | instid1(VALU_DEP_3)
	v_mad_co_u64_u32 v[13:14], null, s17, v14, v[6:7]
	v_lshlrev_b64_e32 v[11:12], 2, v[1:2]
	v_mul_u32_u24_e32 v1, 0xf10, v19
	v_mad_co_u64_u32 v[14:15], null, s16, v18, 0
	v_add_co_u32 v7, vcc_lo, s0, v7
	v_lshrrev_b32_e32 v20, 16, v1
	s_wait_alu 0xfffd
	v_add_co_ci_u32_e32 v8, vcc_lo, s1, v8, vcc_lo
	v_mov_b32_e32 v6, v13
	v_add_co_u32 v7, vcc_lo, v7, v11
	v_mov_b32_e32 v11, v15
	v_mul_lo_u16 v13, v20, 17
	s_delay_alu instid0(VALU_DEP_4)
	v_lshlrev_b64_e32 v[5:6], 2, v[5:6]
	v_mul_lo_u32 v1, s18, v16
	s_wait_alu 0xfffd
	v_add_co_ci_u32_e32 v8, vcc_lo, v8, v12, vcc_lo
	v_mad_co_u64_u32 v[11:12], null, s17, v18, v[11:12]
	v_sub_nc_u16 v12, v19, v13
	v_add_nc_u32_e32 v19, 0x690, v0
	v_add_co_u32 v13, vcc_lo, s0, v5
	s_wait_alu 0xfffd
	v_add_co_ci_u32_e32 v16, vcc_lo, s1, v6, vcc_lo
	v_and_b32_e32 v18, 0xffff, v12
	v_lshlrev_b64_e32 v[5:6], 2, v[1:2]
	v_mov_b32_e32 v15, v11
	v_mul_u32_u24_e32 v1, 0xf10, v19
	v_mul_u32_u24_e32 v22, 0xf10, v21
	v_mad_co_u64_u32 v[11:12], null, s16, v18, 0
	v_add_co_u32 v5, vcc_lo, v13, v5
	s_delay_alu instid0(VALU_DEP_4)
	v_lshrrev_b32_e32 v24, 16, v1
	v_lshlrev_b64_e32 v[13:14], 2, v[14:15]
	v_mul_lo_u32 v1, s18, v17
	s_wait_alu 0xfffd
	v_add_co_ci_u32_e32 v6, vcc_lo, v16, v6, vcc_lo
	v_mul_lo_u16 v17, v24, 17
	v_lshrrev_b32_e32 v28, 16, v22
	v_mad_co_u64_u32 v[15:16], null, s17, v18, v[12:13]
	v_mul_u32_u24_e32 v16, 0xf10, v23
	s_delay_alu instid0(VALU_DEP_4)
	v_sub_nc_u16 v12, v19, v17
	v_add_co_u32 v17, vcc_lo, s0, v13
	s_wait_alu 0xfffd
	v_add_co_ci_u32_e32 v18, vcc_lo, s1, v14, vcc_lo
	v_lshlrev_b64_e32 v[13:14], 2, v[1:2]
	v_mul_lo_u16 v1, v28, 17
	v_lshrrev_b32_e32 v37, 16, v16
	v_dual_mov_b32 v12, v15 :: v_dual_and_b32 v19, 0xffff, v12
	s_delay_alu instid0(VALU_DEP_3) | instskip(NEXT) | instid1(VALU_DEP_3)
	v_sub_nc_u16 v21, v21, v1
	v_mul_lo_u16 v1, v37, 17
	v_add_co_u32 v13, vcc_lo, v17, v13
	s_delay_alu instid0(VALU_DEP_4) | instskip(NEXT) | instid1(VALU_DEP_3)
	v_mad_co_u64_u32 v[15:16], null, s16, v19, 0
	v_sub_nc_u16 v17, v23, v1
	v_and_b32_e32 v25, 0xffff, v21
	s_wait_alu 0xfffd
	v_add_co_ci_u32_e32 v14, vcc_lo, v18, v14, vcc_lo
	v_lshlrev_b64_e32 v[11:12], 2, v[11:12]
	v_and_b32_e32 v26, 0xffff, v17
	v_mad_co_u64_u32 v[17:18], null, s16, v25, 0
	v_mul_lo_u32 v1, s18, v20
	s_delay_alu instid0(VALU_DEP_4) | instskip(SKIP_2) | instid1(VALU_DEP_4)
	v_add_co_u32 v27, vcc_lo, s0, v11
	s_wait_alu 0xfffd
	v_add_co_ci_u32_e32 v38, vcc_lo, s1, v12, vcc_lo
	v_mad_co_u64_u32 v[19:20], null, s17, v19, v[16:17]
	v_mad_co_u64_u32 v[20:21], null, s16, v26, 0
	v_mov_b32_e32 v11, v18
	v_lshlrev_b64_e32 v[22:23], 2, v[1:2]
	v_mul_lo_u32 v1, s18, v24
	v_mov_b32_e32 v16, v19
	s_delay_alu instid0(VALU_DEP_4) | instskip(SKIP_2) | instid1(VALU_DEP_4)
	v_mad_co_u64_u32 v[11:12], null, s17, v25, v[11:12]
	v_mov_b32_e32 v12, v21
	v_add_co_u32 v22, vcc_lo, v27, v22
	v_lshlrev_b64_e32 v[15:16], 2, v[15:16]
	v_lshlrev_b64_e32 v[24:25], 2, v[1:2]
	s_delay_alu instid0(VALU_DEP_4)
	v_mad_co_u64_u32 v[26:27], null, s17, v26, v[12:13]
	v_mov_b32_e32 v18, v11
	v_mul_lo_u32 v1, s18, v28
	s_wait_alu 0xfffd
	v_add_co_ci_u32_e32 v23, vcc_lo, v38, v23, vcc_lo
	v_add_co_u32 v15, vcc_lo, s0, v15
	v_mov_b32_e32 v21, v26
	s_wait_alu 0xfffd
	v_add_co_ci_u32_e32 v16, vcc_lo, s1, v16, vcc_lo
	v_lshlrev_b64_e32 v[11:12], 2, v[17:18]
	v_lshlrev_b64_e32 v[17:18], 2, v[1:2]
	v_mul_lo_u32 v1, s18, v37
	v_add_co_u32 v15, vcc_lo, v15, v24
	v_lshlrev_b64_e32 v[19:20], 2, v[20:21]
	s_wait_alu 0xfffd
	v_add_co_ci_u32_e32 v16, vcc_lo, v16, v25, vcc_lo
	v_add_co_u32 v21, vcc_lo, s0, v11
	s_wait_alu 0xfffd
	v_add_co_ci_u32_e32 v24, vcc_lo, s1, v12, vcc_lo
	v_add_co_u32 v19, vcc_lo, s0, v19
	v_lshlrev_b64_e32 v[11:12], 2, v[1:2]
	s_wait_alu 0xfffd
	v_add_co_ci_u32_e32 v20, vcc_lo, s1, v20, vcc_lo
	v_add_co_u32 v17, vcc_lo, v21, v17
	s_wait_alu 0xfffd
	v_add_co_ci_u32_e32 v18, vcc_lo, v24, v18, vcc_lo
	v_add_co_u32 v11, vcc_lo, v19, v11
	s_wait_alu 0xfffd
	v_add_co_ci_u32_e32 v12, vcc_lo, v20, v12, vcc_lo
	s_clause 0x8
	global_load_b32 v3, v[3:4], off
	global_load_b32 v4, v[9:10], off
	global_load_b32 v7, v[7:8], off
	global_load_b32 v5, v[5:6], off
	global_load_b32 v6, v[13:14], off
	global_load_b32 v8, v[22:23], off
	global_load_b32 v9, v[15:16], off
	global_load_b32 v10, v[17:18], off
	global_load_b32 v11, v[11:12], off
	v_add_nc_u32_e32 v1, s22, v0
	v_lshl_add_u32 v13, v0, 2, 0
	s_add_nc_u64 s[0:1], s[10:11], s[4:5]
	s_load_b64 s[0:1], s[0:1], 0x0
	s_delay_alu instid0(VALU_DEP_2) | instskip(NEXT) | instid1(VALU_DEP_2)
	v_mul_hi_u32 v12, 0x88888889, v1
	v_add_nc_u32_e32 v14, 0x200, v13
	v_add_nc_u32_e32 v15, 0x600, v13
	;; [unrolled: 1-line block ×6, first 2 shown]
	v_lshrrev_b32_e32 v12, 6, v12
	s_delay_alu instid0(VALU_DEP_1) | instskip(SKIP_2) | instid1(VALU_DEP_1)
	v_mul_lo_u32 v12, 0x78, v12
	s_wait_kmcnt 0x0
	s_mul_u64 s[0:1], s[0:1], s[24:25]
	v_sub_nc_u32_e32 v1, v1, v12
	v_add_nc_u32_e32 v12, 0xe00, v13
	s_wait_alu 0xfffe
	s_lshl_b64 s[0:1], s[0:1], 2
	s_wait_loadcnt 0xf
	ds_store_2addr_b32 v13, v29, v30 offset1:120
	s_wait_loadcnt 0xd
	ds_store_2addr_b32 v14, v31, v32 offset0:112 offset1:232
	s_wait_loadcnt 0xb
	ds_store_2addr_b32 v15, v33, v34 offset0:96 offset1:216
	;; [unrolled: 2-line block ×7, first 2 shown]
	s_wait_loadcnt 0x0
	ds_store_b32 v13, v11 offset:7680
	v_mad_u32_u24 v1, 0x44, v1, 0
	global_wb scope:SCOPE_SE
	s_wait_dscnt 0x0
	s_barrier_signal -1
	s_barrier_wait -1
	global_inv scope:SCOPE_SE
	ds_load_2addr_b32 v[3:4], v1 offset0:8 offset1:9
	ds_load_2addr_b32 v[5:6], v1 offset1:7
	ds_load_2addr_b32 v[16:17], v1 offset0:1 offset1:2
	ds_load_2addr_b32 v[13:14], v1 offset0:3 offset1:4
	;; [unrolled: 1-line block ×6, first 2 shown]
	ds_load_b32 v20, v1 offset:64
	global_wb scope:SCOPE_SE
	s_wait_dscnt 0x0
	s_barrier_signal -1
	s_barrier_wait -1
	global_inv scope:SCOPE_SE
	s_wait_alu 0xfffe
	s_add_nc_u64 s[0:1], s[2:3], s[0:1]
	s_lshl_b64 s[2:3], s[20:21], 2
	s_wait_alu 0xfffe
	s_add_nc_u64 s[0:1], s[0:1], s[2:3]
	v_lshrrev_b32_e32 v21, 16, v3
	v_lshrrev_b32_e32 v23, 16, v5
	v_add_f16_e32 v24, v16, v5
	v_lshrrev_b32_e32 v25, 16, v16
	v_lshrrev_b32_e32 v26, 16, v17
	v_alignbit_b32 v16, v16, v16, 16
	v_lshrrev_b32_e32 v27, 16, v13
	v_pk_add_f16 v39, v19, v17
	v_pk_add_f16 v40, v17, v19 neg_lo:[0,1] neg_hi:[0,1]
	v_add_f16_e32 v17, v24, v17
	v_add_f16_e32 v24, v25, v23
	v_pk_add_f16 v25, v20, v16 op_sel:[1,0] op_sel_hi:[0,1]
	v_pk_add_f16 v16, v16, v20 op_sel:[0,1] op_sel_hi:[1,0] neg_lo:[0,1] neg_hi:[0,1]
	v_lshrrev_b32_e32 v28, 16, v14
	v_add_f16_e32 v17, v17, v13
	v_add_f16_e32 v24, v24, v26
	v_lshrrev_b32_e32 v29, 16, v9
	v_mul_f16_e32 v43, 0xb5c8, v16
	v_lshrrev_b32_e32 v45, 16, v16
	v_mul_f16_e32 v46, 0xb964, v16
	v_mul_f16_e32 v48, 0xbb29, v16
	;; [unrolled: 1-line block ×6, first 2 shown]
	v_pk_mul_f16 v58, 0xb1e1, v16 op_sel_hi:[0,1]
	v_add_f16_e32 v16, v17, v14
	v_add_f16_e32 v17, v24, v27
	v_lshrrev_b32_e32 v30, 16, v10
	v_lshrrev_b32_e32 v31, 16, v6
	v_lshrrev_b32_e32 v22, 16, v4
	v_add_f16_e32 v16, v16, v9
	v_add_f16_e32 v17, v17, v28
	v_lshrrev_b32_e32 v32, 16, v7
	v_lshrrev_b32_e32 v33, 16, v8
	v_lshrrev_b32_e32 v34, 16, v11
	;; [unrolled: 5-line block ×3, first 2 shown]
	v_add_f16_e32 v16, v16, v6
	v_add_f16_e32 v17, v17, v30
	v_lshrrev_b32_e32 v38, 16, v20
	v_lshrrev_b32_e32 v26, 16, v25
	v_mul_f16_e32 v53, 0xb461, v25
	v_add_f16_e32 v16, v16, v3
	v_add_f16_e32 v17, v17, v31
	v_lshrrev_b32_e32 v41, 16, v40
	v_lshrrev_b32_e32 v42, 16, v39
	v_mul_f16_e32 v44, 0x3b76, v25
	v_add_f16_e32 v16, v16, v4
	v_add_f16_e32 v17, v17, v21
	v_mul_f16_e32 v47, 0x39e9, v25
	v_mul_f16_e32 v55, 0xb8d2, v25
	v_fmamk_f16 v29, v26, 0xb461, v52
	v_add_f16_e32 v16, v16, v7
	v_add_f16_e32 v17, v17, v22
	v_fmamk_f16 v64, v45, 0x3bb2, v53
	v_fma_f16 v30, v26, 0xb461, -v52
	v_fmac_f16_e32 v53, 0xbbb2, v45
	v_add_f16_e32 v16, v16, v8
	v_add_f16_e32 v17, v17, v32
	v_fmamk_f16 v52, v26, 0xb8d2, v54
	v_mul_f16_e32 v49, 0x3722, v25
	v_mul_f16_e32 v51, 0x2de8, v25
	v_add_f16_e32 v16, v16, v11
	v_add_f16_e32 v17, v17, v33
	v_mul_f16_e32 v57, 0xbacd, v25
	v_fmamk_f16 v24, v26, 0x3b76, v43
	v_fmamk_f16 v27, v45, 0x35c8, v44
	v_add_f16_e32 v16, v16, v12
	v_add_f16_e32 v17, v17, v34
	v_fma_f16 v43, v26, 0x3b76, -v43
	v_fmac_f16_e32 v44, 0xb5c8, v45
	v_fmamk_f16 v59, v26, 0x39e9, v46
	v_add_f16_e32 v16, v16, v18
	v_add_f16_e32 v17, v17, v35
	v_fmamk_f16 v60, v45, 0x3964, v47
	v_fma_f16 v46, v26, 0x39e9, -v46
	v_fmac_f16_e32 v47, 0xb964, v45
	v_add_f16_e32 v16, v16, v19
	v_add_f16_e32 v17, v17, v36
	v_fmamk_f16 v61, v26, 0x3722, v48
	v_fma_f16 v48, v26, 0x3722, -v48
	v_fmamk_f16 v28, v26, 0x2de8, v50
	v_add_f16_e32 v16, v16, v20
	v_add_f16_e32 v17, v17, v37
	v_fma_f16 v50, v26, 0x2de8, -v50
	v_fmamk_f16 v31, v45, 0x3a62, v55
	v_fma_f16 v54, v26, 0xb8d2, -v54
	v_and_b32_e32 v16, 0xffff, v16
	v_add_f16_e32 v17, v17, v38
	v_fmac_f16_e32 v55, 0xba62, v45
	v_fmamk_f16 v21, v26, 0xbacd, v56
	v_fma_f16 v26, v26, 0xbacd, -v56
	v_add_f16_e32 v37, v53, v23
	v_lshlrev_b32_e32 v17, 16, v17
	v_add_f16_e32 v20, v52, v5
	v_pk_fma_f16 v52, 0xbbdd, v25, v58 op_sel:[0,0,1] op_sel_hi:[0,1,0]
	v_pk_fma_f16 v25, 0xbbdd, v25, v58 op_sel:[0,0,1] op_sel_hi:[0,1,0] neg_lo:[0,0,1] neg_hi:[0,0,1]
	v_mul_f16_e32 v53, 0x39e9, v42
	v_or_b32_e32 v16, v17, v16
	v_mul_f16_e32 v17, 0xb964, v41
	v_fmamk_f16 v62, v45, 0x3b29, v49
	v_fmac_f16_e32 v49, 0xbb29, v45
	v_fmamk_f16 v63, v45, 0x3bf7, v51
	v_fmac_f16_e32 v51, 0xbbf7, v45
	;; [unrolled: 2-line block ×3, first 2 shown]
	v_add_f16_e32 v22, v24, v5
	v_add_f16_e32 v24, v27, v23
	;; [unrolled: 1-line block ×17, first 2 shown]
	v_fmamk_f16 v54, v39, 0x39e9, v17
	v_pk_add_f16 v52, v52, v5 op_sel:[0,1] op_sel_hi:[1,0]
	v_pk_add_f16 v5, v25, v5 op_sel:[0,1] op_sel_hi:[1,0]
	v_fmamk_f16 v25, v40, 0x3964, v53
	v_mul_f16_e32 v55, 0xbbf7, v41
	v_add_f16_e32 v22, v54, v22
	v_fma_f16 v17, v39, 0x39e9, -v17
	v_fmac_f16_e32 v53, 0xb964, v40
	v_add_f16_e32 v24, v25, v24
	v_fmamk_f16 v25, v39, 0x2de8, v55
	v_mul_f16_e32 v54, 0x2de8, v42
	v_add_f16_e32 v33, v60, v23
	v_add_f16_e32 v17, v17, v27
	;; [unrolled: 1-line block ×3, first 2 shown]
	v_mul_f16_e32 v32, 0xba62, v41
	v_add_f16_e32 v25, v25, v43
	v_fmamk_f16 v43, v40, 0x3bf7, v54
	v_fma_f16 v53, v39, 0x2de8, -v55
	v_fmac_f16_e32 v54, 0xbbf7, v40
	v_mul_f16_e32 v56, 0xb8d2, v42
	v_add_f16_e32 v46, v62, v23
	v_fmamk_f16 v55, v39, 0xb8d2, v32
	v_add_f16_e32 v33, v43, v33
	v_add_f16_e32 v43, v53, v44
	;; [unrolled: 1-line block ×3, first 2 shown]
	v_fmamk_f16 v45, v40, 0x3a62, v56
	v_mul_f16_e32 v53, 0xb1e1, v41
	v_fma_f16 v32, v39, 0xb8d2, -v32
	v_mul_f16_e32 v54, 0xbbdd, v42
	v_add_f16_e32 v48, v63, v23
	v_add_f16_e32 v34, v55, v34
	;; [unrolled: 1-line block ×3, first 2 shown]
	v_fmamk_f16 v46, v39, 0xbbdd, v53
	v_add_f16_e32 v32, v32, v47
	v_fmamk_f16 v47, v40, 0x31e1, v54
	v_mul_f16_e32 v55, 0x3836, v41
	v_add_f16_e32 v35, v49, v23
	v_fmac_f16_e32 v56, 0xba62, v40
	v_add_f16_e32 v28, v46, v28
	v_fma_f16 v46, v39, 0xbbdd, -v53
	v_add_f16_e32 v47, v47, v48
	v_fmamk_f16 v48, v39, 0xbacd, v55
	v_mul_f16_e32 v53, 0xbacd, v42
	v_add_f16_e32 v49, v51, v23
	v_add_f16_e32 v19, v64, v23
	;; [unrolled: 1-line block ×3, first 2 shown]
	v_fmac_f16_e32 v54, 0xb1e1, v40
	v_add_f16_e32 v29, v48, v29
	v_fmamk_f16 v48, v40, 0xb836, v53
	v_mul_f16_e32 v56, 0xb461, v42
	v_add_f16_e32 v31, v31, v23
	v_add_f16_e32 v36, v46, v36
	;; [unrolled: 1-line block ×3, first 2 shown]
	v_mul_f16_e32 v49, 0x3bb2, v41
	v_fmac_f16_e32 v53, 0x3836, v40
	v_add_f16_e32 v19, v48, v19
	v_fmamk_f16 v48, v40, 0xbbb2, v56
	v_mul_f16_e32 v41, 0x3b29, v41
	v_fma_f16 v54, v39, 0xbacd, -v55
	v_fmamk_f16 v55, v39, 0xb461, v49
	v_add_f16_e32 v37, v53, v37
	v_fma_f16 v49, v39, 0xb461, -v49
	v_fmac_f16_e32 v56, 0x3bb2, v40
	v_mul_f16_e32 v42, 0x3722, v42
	v_add_f16_e32 v31, v48, v31
	v_fmamk_f16 v48, v39, 0x3722, v41
	v_pk_add_f16 v53, v13, v18 neg_lo:[0,1] neg_hi:[0,1]
	v_fma_f16 v41, v39, 0x3722, -v41
	v_pk_add_f16 v13, v18, v13
	v_add_f16_e32 v51, v65, v23
	v_add_f16_e32 v38, v49, v38
	;; [unrolled: 1-line block ×3, first 2 shown]
	v_fmamk_f16 v50, v40, 0xbb29, v42
	v_add_f16_e32 v21, v48, v21
	v_lshrrev_b32_e32 v48, 16, v53
	v_pk_mul_f16 v39, 0x3b76, v39 op_sel_hi:[0,1]
	v_add_f16_e32 v26, v41, v26
	v_lshrrev_b32_e32 v41, 16, v13
	v_add_f16_e32 v23, v57, v23
	v_add_f16_e32 v18, v50, v51
	v_fmac_f16_e32 v42, 0x3b29, v40
	v_mul_f16_e32 v50, 0xbb29, v48
	v_pk_fma_f16 v51, 0x35c8, v40, v39 op_sel:[0,0,1] op_sel_hi:[0,1,0]
	v_pk_fma_f16 v39, 0x35c8, v40, v39 op_sel:[0,0,1] op_sel_hi:[0,1,0] neg_lo:[0,1,0] neg_hi:[0,1,0]
	v_mul_f16_e32 v40, 0x3722, v41
	v_add_f16_e32 v23, v42, v23
	v_fmamk_f16 v42, v13, 0x3722, v50
	v_pk_add_f16 v51, v51, v52
	v_pk_add_f16 v5, v39, v5
	v_fmamk_f16 v39, v53, 0x3b29, v40
	v_mul_f16_e32 v52, 0xba62, v48
	v_add_f16_e32 v22, v42, v22
	v_fma_f16 v42, v13, 0x3722, -v50
	v_fmac_f16_e32 v40, 0xbb29, v53
	v_add_f16_e32 v24, v39, v24
	v_fmamk_f16 v39, v13, 0xb8d2, v52
	v_mul_f16_e32 v50, 0xb8d2, v41
	v_add_f16_e32 v30, v54, v30
	v_add_f16_e32 v17, v42, v17
	;; [unrolled: 1-line block ×3, first 2 shown]
	v_mul_f16_e32 v40, 0x31e1, v48
	v_add_f16_e32 v25, v39, v25
	v_fmamk_f16 v39, v53, 0x3a62, v50
	v_fma_f16 v42, v13, 0xb8d2, -v52
	v_fmac_f16_e32 v50, 0xba62, v53
	v_mul_f16_e32 v54, 0xbbdd, v41
	v_fmamk_f16 v52, v13, 0xbbdd, v40
	v_add_f16_e32 v33, v39, v33
	v_add_f16_e32 v39, v42, v43
	v_add_f16_e32 v42, v50, v44
	v_fmamk_f16 v43, v53, 0xb1e1, v54
	v_mul_f16_e32 v44, 0x3bb2, v48
	v_fma_f16 v40, v13, 0xbbdd, -v40
	v_mul_f16_e32 v50, 0xb461, v41
	v_add_f16_e32 v34, v52, v34
	v_add_f16_e32 v43, v43, v45
	v_fmamk_f16 v45, v13, 0xb461, v44
	v_add_f16_e32 v32, v40, v32
	v_fmamk_f16 v40, v53, 0xbbb2, v50
	v_mul_f16_e32 v52, 0x3964, v48
	v_fmac_f16_e32 v54, 0x31e1, v53
	v_add_f16_e32 v28, v45, v28
	v_fma_f16 v44, v13, 0xb461, -v44
	v_add_f16_e32 v40, v40, v47
	v_fmamk_f16 v45, v13, 0x39e9, v52
	v_mul_f16_e32 v47, 0x39e9, v41
	v_add_f16_e32 v35, v54, v35
	v_fmac_f16_e32 v50, 0x3bb2, v53
	v_mul_f16_e32 v54, 0x3b76, v41
	v_add_f16_e32 v29, v45, v29
	v_fmamk_f16 v45, v53, 0xb964, v47
	v_fmac_f16_e32 v47, 0x3964, v53
	v_add_f16_e32 v36, v44, v36
	v_add_f16_e32 v44, v50, v46
	v_mul_f16_e32 v46, 0xb5c8, v48
	v_add_f16_e32 v19, v45, v19
	v_add_f16_e32 v37, v47, v37
	v_fmamk_f16 v45, v53, 0x35c8, v54
	v_mul_f16_e32 v47, 0xbbf7, v48
	v_fma_f16 v50, v13, 0x39e9, -v52
	v_fmamk_f16 v52, v13, 0x3b76, v46
	v_fma_f16 v46, v13, 0x3b76, -v46
	v_fmac_f16_e32 v54, 0xb5c8, v53
	v_mul_f16_e32 v41, 0x2de8, v41
	v_add_f16_e32 v31, v45, v31
	v_fmamk_f16 v45, v13, 0x2de8, v47
	v_add_f16_e32 v38, v46, v38
	v_add_f16_e32 v46, v54, v49
	v_fmamk_f16 v48, v53, 0x3bf7, v41
	v_pk_add_f16 v49, v14, v12 neg_lo:[0,1] neg_hi:[0,1]
	v_add_f16_e32 v21, v45, v21
	v_fma_f16 v45, v13, 0x2de8, -v47
	v_pk_add_f16 v12, v12, v14
	v_add_f16_e32 v14, v48, v18
	v_lshrrev_b32_e32 v18, 16, v49
	v_pk_mul_f16 v13, 0xbacd, v13 op_sel_hi:[0,1]
	v_add_f16_e32 v26, v45, v26
	v_lshrrev_b32_e32 v45, 16, v12
	v_add_f16_e32 v30, v50, v30
	v_fmac_f16_e32 v41, 0xbbf7, v53
	v_mul_f16_e32 v47, 0xbbf7, v18
	v_pk_fma_f16 v48, 0xb836, v53, v13 op_sel:[0,0,1] op_sel_hi:[0,1,0]
	v_pk_fma_f16 v13, 0xb836, v53, v13 op_sel:[0,0,1] op_sel_hi:[0,1,0] neg_lo:[0,1,0] neg_hi:[0,1,0]
	v_mul_f16_e32 v50, 0x2de8, v45
	v_add_f16_e32 v23, v41, v23
	v_fmamk_f16 v41, v12, 0x2de8, v47
	v_pk_add_f16 v48, v48, v51
	v_pk_add_f16 v5, v13, v5
	v_fmamk_f16 v13, v49, 0x3bf7, v50
	v_mul_f16_e32 v51, 0xb1e1, v18
	v_add_f16_e32 v20, v55, v20
	v_add_f16_e32 v22, v41, v22
	v_fma_f16 v41, v12, 0x2de8, -v47
	v_fmac_f16_e32 v50, 0xbbf7, v49
	v_add_f16_e32 v13, v13, v24
	v_fmamk_f16 v24, v12, 0xbbdd, v51
	v_mul_f16_e32 v47, 0xbbdd, v45
	v_add_f16_e32 v20, v52, v20
	v_add_f16_e32 v17, v41, v17
	;; [unrolled: 1-line block ×3, first 2 shown]
	v_mul_f16_e32 v41, 0x3bb2, v18
	v_add_f16_e32 v24, v24, v25
	v_fmamk_f16 v25, v49, 0x31e1, v47
	v_fma_f16 v50, v12, 0xbbdd, -v51
	v_fmac_f16_e32 v47, 0xb1e1, v49
	v_mul_f16_e32 v52, 0xb461, v45
	v_fmamk_f16 v51, v12, 0xb461, v41
	v_add_f16_e32 v25, v25, v33
	v_add_f16_e32 v33, v50, v39
	;; [unrolled: 1-line block ×3, first 2 shown]
	v_fmamk_f16 v42, v49, 0xbbb2, v52
	v_mul_f16_e32 v47, 0x35c8, v18
	v_fma_f16 v41, v12, 0xb461, -v41
	v_mul_f16_e32 v50, 0x3b76, v45
	v_add_f16_e32 v34, v51, v34
	v_add_f16_e32 v42, v42, v43
	v_fmamk_f16 v43, v12, 0x3b76, v47
	v_add_f16_e32 v32, v41, v32
	v_fmamk_f16 v41, v49, 0xb5c8, v50
	v_mul_f16_e32 v51, 0xbb29, v18
	v_fmac_f16_e32 v52, 0x3bb2, v49
	v_add_f16_e32 v28, v43, v28
	v_fma_f16 v43, v12, 0x3b76, -v47
	v_fmac_f16_e32 v50, 0x35c8, v49
	v_add_f16_e32 v40, v41, v40
	v_fmamk_f16 v41, v12, 0x3722, v51
	v_mul_f16_e32 v47, 0x3722, v45
	v_add_f16_e32 v35, v52, v35
	v_add_f16_e32 v36, v43, v36
	;; [unrolled: 1-line block ×3, first 2 shown]
	v_mul_f16_e32 v44, 0xb836, v18
	v_add_f16_e32 v29, v41, v29
	v_fmamk_f16 v41, v49, 0x3b29, v47
	v_mul_f16_e32 v52, 0xbacd, v45
	v_fma_f16 v50, v12, 0x3722, -v51
	v_fmac_f16_e32 v47, 0xbb29, v49
	v_fmamk_f16 v51, v12, 0xbacd, v44
	v_add_f16_e32 v19, v41, v19
	v_fmamk_f16 v41, v49, 0x3836, v52
	v_mul_f16_e32 v18, 0x3a62, v18
	v_fma_f16 v44, v12, 0xbacd, -v44
	v_fmac_f16_e32 v52, 0xb836, v49
	v_mul_f16_e32 v45, 0xb8d2, v45
	v_add_f16_e32 v37, v47, v37
	v_add_f16_e32 v31, v41, v31
	v_fmamk_f16 v41, v12, 0xb8d2, v18
	v_add_f16_e32 v38, v44, v38
	v_add_f16_e32 v44, v52, v46
	v_fmamk_f16 v46, v49, 0xba62, v45
	v_pk_add_f16 v47, v9, v11 neg_lo:[0,1] neg_hi:[0,1]
	v_fma_f16 v18, v12, 0xb8d2, -v18
	v_pk_add_f16 v9, v11, v9
	v_pk_mul_f16 v12, 0x39e9, v12 op_sel_hi:[0,1]
	v_add_f16_e32 v11, v46, v14
	v_lshrrev_b32_e32 v14, 16, v47
	v_add_f16_e32 v18, v18, v26
	v_lshrrev_b32_e32 v26, 16, v9
	v_add_f16_e32 v21, v41, v21
	v_fmac_f16_e32 v45, 0x3a62, v49
	v_mul_f16_e32 v41, 0xbbb2, v14
	v_pk_fma_f16 v46, 0x3964, v49, v12 op_sel:[0,0,1] op_sel_hi:[0,1,0]
	v_pk_fma_f16 v12, 0x3964, v49, v12 op_sel:[0,0,1] op_sel_hi:[0,1,0] neg_lo:[0,1,0] neg_hi:[0,1,0]
	v_mul_f16_e32 v49, 0xb461, v26
	v_add_f16_e32 v23, v45, v23
	v_fmamk_f16 v45, v9, 0xb461, v41
	v_pk_add_f16 v46, v46, v48
	v_pk_add_f16 v5, v12, v5
	v_fmamk_f16 v12, v47, 0x3bb2, v49
	v_mul_f16_e32 v48, 0x3836, v14
	v_add_f16_e32 v22, v45, v22
	v_fma_f16 v41, v9, 0xb461, -v41
	v_mul_f16_e32 v45, 0xbacd, v26
	v_add_f16_e32 v12, v12, v13
	v_fmamk_f16 v13, v9, 0xbacd, v48
	v_add_f16_e32 v30, v50, v30
	v_fmac_f16_e32 v49, 0xbbb2, v47
	v_add_f16_e32 v17, v41, v17
	v_mul_f16_e32 v41, 0x3964, v14
	v_add_f16_e32 v13, v13, v24
	v_fmamk_f16 v24, v47, 0xb836, v45
	v_fma_f16 v48, v9, 0xbacd, -v48
	v_fmac_f16_e32 v45, 0x3836, v47
	v_mul_f16_e32 v50, 0x39e9, v26
	v_add_f16_e32 v27, v49, v27
	v_fmamk_f16 v49, v9, 0x39e9, v41
	v_add_f16_e32 v24, v24, v25
	v_add_f16_e32 v25, v48, v33
	;; [unrolled: 1-line block ×3, first 2 shown]
	v_fmamk_f16 v39, v47, 0xb964, v50
	v_mul_f16_e32 v45, 0xbb29, v14
	v_fma_f16 v41, v9, 0x39e9, -v41
	v_mul_f16_e32 v48, 0x3722, v26
	v_add_f16_e32 v34, v49, v34
	v_add_f16_e32 v39, v39, v42
	v_fmamk_f16 v42, v9, 0x3722, v45
	v_add_f16_e32 v32, v41, v32
	v_fmamk_f16 v41, v47, 0x3b29, v48
	v_mul_f16_e32 v49, 0xb1e1, v14
	v_fmac_f16_e32 v50, 0x3964, v47
	v_add_f16_e32 v28, v42, v28
	v_fma_f16 v42, v9, 0x3722, -v45
	v_fmac_f16_e32 v48, 0xbb29, v47
	v_add_f16_e32 v40, v41, v40
	v_fmamk_f16 v41, v9, 0xbbdd, v49
	v_mul_f16_e32 v45, 0xbbdd, v26
	v_add_f16_e32 v35, v50, v35
	v_add_f16_e32 v36, v42, v36
	;; [unrolled: 1-line block ×3, first 2 shown]
	v_mul_f16_e32 v43, 0x3bf7, v14
	v_add_f16_e32 v29, v41, v29
	v_fmamk_f16 v41, v47, 0x31e1, v45
	v_mul_f16_e32 v50, 0x2de8, v26
	v_fma_f16 v48, v9, 0xbbdd, -v49
	v_fmac_f16_e32 v45, 0xb1e1, v47
	v_fmamk_f16 v49, v9, 0x2de8, v43
	v_add_f16_e32 v19, v41, v19
	v_fmamk_f16 v41, v47, 0xbbf7, v50
	v_fma_f16 v43, v9, 0x2de8, -v43
	v_fmac_f16_e32 v50, 0x3bf7, v47
	v_mul_f16_e32 v26, 0x3b76, v26
	v_add_f16_e32 v37, v45, v37
	v_mul_f16_e32 v14, 0xb5c8, v14
	v_add_f16_e32 v38, v43, v38
	v_add_f16_e32 v43, v50, v44
	v_fmamk_f16 v44, v47, 0x35c8, v26
	v_pk_add_f16 v45, v10, v8 neg_lo:[0,1] neg_hi:[0,1]
	v_add_f16_e32 v31, v41, v31
	v_fmamk_f16 v41, v9, 0x3b76, v14
	v_fma_f16 v14, v9, 0x3b76, -v14
	v_pk_add_f16 v8, v8, v10
	v_add_f16_e32 v10, v44, v11
	v_lshrrev_b32_e32 v11, 16, v45
	v_add_f16_e32 v21, v41, v21
	v_pk_mul_f16 v9, 0xb8d2, v9 op_sel_hi:[0,1]
	v_add_f16_e32 v14, v14, v18
	v_lshrrev_b32_e32 v18, 16, v8
	v_fmac_f16_e32 v26, 0xb5c8, v47
	v_mul_f16_e32 v41, 0xba62, v11
	v_pk_fma_f16 v44, 0xba62, v47, v9 op_sel:[0,0,1] op_sel_hi:[0,1,0]
	v_pk_fma_f16 v9, 0xba62, v47, v9 op_sel:[0,0,1] op_sel_hi:[0,1,0] neg_lo:[0,1,0] neg_hi:[0,1,0]
	v_mul_f16_e32 v47, 0xb8d2, v18
	v_add_f16_e32 v23, v26, v23
	v_fmamk_f16 v26, v8, 0xb8d2, v41
	v_pk_add_f16 v44, v44, v46
	v_pk_add_f16 v5, v9, v5
	v_fmamk_f16 v9, v45, 0x3a62, v47
	v_mul_f16_e32 v46, 0x3bb2, v11
	v_add_f16_e32 v22, v26, v22
	v_fma_f16 v26, v8, 0xb8d2, -v41
	v_fmac_f16_e32 v47, 0xba62, v45
	v_add_f16_e32 v9, v9, v12
	v_fmamk_f16 v12, v8, 0xb461, v46
	v_mul_f16_e32 v41, 0xb461, v18
	v_add_f16_e32 v17, v26, v17
	v_add_f16_e32 v26, v47, v27
	v_mul_f16_e32 v27, 0xb5c8, v11
	v_add_f16_e32 v30, v48, v30
	v_add_f16_e32 v12, v12, v13
	v_fmamk_f16 v13, v45, 0xbbb2, v41
	v_fma_f16 v46, v8, 0xb461, -v46
	v_fmac_f16_e32 v41, 0x3bb2, v45
	v_fmamk_f16 v47, v8, 0x3b76, v27
	v_mul_f16_e32 v48, 0x3b76, v18
	v_add_f16_e32 v13, v13, v24
	v_add_f16_e32 v24, v46, v25
	;; [unrolled: 1-line block ×4, first 2 shown]
	v_fmamk_f16 v34, v45, 0x35c8, v48
	v_mul_f16_e32 v41, 0xb836, v11
	v_fma_f16 v27, v8, 0x3b76, -v27
	v_fmac_f16_e32 v48, 0xb5c8, v45
	v_mul_f16_e32 v46, 0xbacd, v18
	v_add_f16_e32 v34, v34, v39
	v_fmamk_f16 v39, v8, 0xbacd, v41
	v_add_f16_e32 v27, v27, v32
	v_add_f16_e32 v32, v48, v35
	v_fmamk_f16 v35, v45, 0x3836, v46
	v_mul_f16_e32 v47, 0x3bf7, v11
	v_add_f16_e32 v28, v39, v28
	v_fma_f16 v39, v8, 0xbacd, -v41
	v_fmac_f16_e32 v46, 0xb836, v45
	v_add_f16_e32 v35, v35, v40
	v_fmamk_f16 v40, v8, 0x2de8, v47
	v_mul_f16_e32 v41, 0x2de8, v18
	v_add_f16_e32 v36, v39, v36
	v_add_f16_e32 v39, v46, v42
	v_mul_f16_e32 v42, 0xb964, v11
	v_add_f16_e32 v29, v40, v29
	v_fmamk_f16 v40, v45, 0xbbf7, v41
	v_fmac_f16_e32 v41, 0x3bf7, v45
	v_mul_f16_e32 v48, 0x39e9, v18
	v_mul_f16_e32 v18, 0xbbdd, v18
	v_fma_f16 v46, v8, 0x2de8, -v47
	v_add_f16_e32 v19, v40, v19
	v_add_f16_e32 v37, v41, v37
	v_fmamk_f16 v40, v45, 0x3964, v48
	v_fma_f16 v41, v8, 0x39e9, -v42
	v_fmac_f16_e32 v48, 0xb964, v45
	v_fmamk_f16 v47, v8, 0x39e9, v42
	v_mul_f16_e32 v11, 0xb1e1, v11
	v_fmamk_f16 v42, v45, 0x31e1, v18
	v_add_f16_e32 v38, v41, v38
	v_add_f16_e32 v41, v48, v43
	v_pk_add_f16 v43, v6, v7 neg_lo:[0,1] neg_hi:[0,1]
	v_add_f16_e32 v31, v40, v31
	v_fmamk_f16 v40, v8, 0xbbdd, v11
	v_fma_f16 v11, v8, 0xbbdd, -v11
	v_pk_add_f16 v6, v7, v6
	v_add_f16_e32 v7, v42, v10
	v_lshrrev_b32_e32 v10, 16, v43
	v_add_f16_e32 v21, v40, v21
	v_pk_mul_f16 v8, 0x3722, v8 op_sel_hi:[0,1]
	v_add_f16_e32 v11, v11, v14
	v_lshrrev_b32_e32 v14, 16, v6
	v_fmac_f16_e32 v18, 0xb1e1, v45
	v_mul_f16_e32 v40, 0xb836, v10
	v_pk_fma_f16 v42, 0x3b29, v45, v8 op_sel:[0,0,1] op_sel_hi:[0,1,0]
	v_pk_fma_f16 v8, 0x3b29, v45, v8 op_sel:[0,0,1] op_sel_hi:[0,1,0] neg_lo:[0,1,0] neg_hi:[0,1,0]
	v_mul_f16_e32 v45, 0xbacd, v14
	v_add_f16_e32 v18, v18, v23
	v_fmamk_f16 v23, v6, 0xbacd, v40
	v_pk_add_f16 v42, v42, v44
	v_pk_add_f16 v5, v8, v5
	v_fmamk_f16 v8, v43, 0x3836, v45
	v_mul_f16_e32 v44, 0x3b29, v10
	v_add_f16_e32 v22, v23, v22
	v_fma_f16 v23, v6, 0xbacd, -v40
	v_fmac_f16_e32 v45, 0xb836, v43
	v_add_f16_e32 v8, v8, v9
	v_fmamk_f16 v9, v6, 0x3722, v44
	v_mul_f16_e32 v40, 0x3722, v14
	v_add_f16_e32 v17, v23, v17
	v_add_f16_e32 v23, v45, v26
	v_mul_f16_e32 v26, 0xbbf7, v10
	v_add_f16_e32 v30, v46, v30
	v_add_f16_e32 v9, v9, v12
	v_fmamk_f16 v12, v43, 0xbb29, v40
	v_fma_f16 v44, v6, 0x3722, -v44
	v_fmac_f16_e32 v40, 0x3b29, v43
	v_fmamk_f16 v45, v6, 0x2de8, v26
	v_mul_f16_e32 v46, 0x2de8, v14
	v_add_f16_e32 v12, v12, v13
	v_add_f16_e32 v13, v44, v24
	v_add_f16_e32 v24, v40, v25
	v_add_f16_e32 v25, v45, v33
	v_fmamk_f16 v33, v43, 0x3bf7, v46
	v_mul_f16_e32 v40, 0x3a62, v10
	v_fma_f16 v26, v6, 0x2de8, -v26
	v_fmac_f16_e32 v46, 0xbbf7, v43
	v_mul_f16_e32 v44, 0xb8d2, v14
	v_add_f16_e32 v33, v33, v34
	v_fmamk_f16 v34, v6, 0xb8d2, v40
	v_add_f16_e32 v26, v26, v27
	v_add_f16_e32 v27, v46, v32
	v_fmamk_f16 v32, v43, 0xba62, v44
	v_mul_f16_e32 v45, 0xb5c8, v10
	v_add_f16_e32 v28, v34, v28
	v_fma_f16 v34, v6, 0xb8d2, -v40
	v_fmac_f16_e32 v44, 0x3a62, v43
	v_add_f16_e32 v32, v32, v35
	v_fmamk_f16 v35, v6, 0x3b76, v45
	v_mul_f16_e32 v40, 0x3b76, v14
	v_add_f16_e32 v34, v34, v36
	v_add_f16_e32 v36, v44, v39
	v_mul_f16_e32 v39, 0xb1e1, v10
	v_add_f16_e32 v29, v35, v29
	v_fmamk_f16 v35, v43, 0x35c8, v40
	v_fmac_f16_e32 v40, 0xb5c8, v43
	v_mul_f16_e32 v46, 0xbbdd, v14
	v_fma_f16 v44, v6, 0x3b76, -v45
	v_fmamk_f16 v45, v6, 0xbbdd, v39
	v_add_f16_e32 v19, v35, v19
	v_add_f16_e32 v35, v40, v37
	v_fmamk_f16 v37, v43, 0x31e1, v46
	v_fma_f16 v39, v6, 0xbbdd, -v39
	v_mul_f16_e32 v10, 0x3964, v10
	v_fmac_f16_e32 v46, 0xb1e1, v43
	v_alignbit_b32 v15, v4, v3, 16
	v_add_f16_e32 v31, v37, v31
	v_add_f16_e32 v37, v39, v38
	v_fmamk_f16 v38, v6, 0x39e9, v10
	v_add_f16_e32 v39, v46, v41
	v_alignbit_b32 v41, v3, v4, 16
	v_pk_add_f16 v3, v3, v4 neg_lo:[0,1] neg_hi:[0,1]
	v_mul_f16_e32 v14, 0x39e9, v14
	v_add_f16_e32 v4, v38, v21
	v_fma_f16 v10, v6, 0x39e9, -v10
	v_pk_add_f16 v15, v15, v41
	v_lshrrev_b32_e32 v21, 16, v3
	v_fmamk_f16 v40, v43, 0xb964, v14
	v_pk_mul_f16 v6, 0xb461, v6 op_sel_hi:[0,1]
	v_add_f16_e32 v10, v10, v11
	v_fmac_f16_e32 v14, 0x3964, v43
	v_lshrrev_b32_e32 v11, 16, v15
	v_mul_f16_e32 v38, 0xb1e1, v21
	v_add_f16_e32 v7, v40, v7
	v_pk_fma_f16 v40, 0xbbb2, v43, v6 op_sel:[0,0,1] op_sel_hi:[0,1,0]
	v_pk_fma_f16 v6, 0xbbb2, v43, v6 op_sel:[0,0,1] op_sel_hi:[0,1,0] neg_lo:[0,1,0] neg_hi:[0,1,0]
	v_mul_f16_e32 v41, 0xbbdd, v15
	v_add_f16_e32 v14, v14, v18
	v_fmamk_f16 v18, v11, 0xbbdd, v38
	v_pk_add_f16 v40, v40, v42
	v_pk_add_f16 v5, v6, v5
	v_fmamk_f16 v6, v3, 0x31e1, v41
	v_mul_f16_e32 v42, 0x35c8, v21
	v_add_f16_e32 v18, v18, v22
	v_fma_f16 v22, v11, 0xbbdd, -v38
	v_fmac_f16_e32 v41, 0xb1e1, v3
	v_add_f16_e32 v6, v6, v8
	v_fmamk_f16 v8, v11, 0x3b76, v42
	v_mul_f16_e32 v38, 0x3b76, v15
	v_add_f16_e32 v17, v22, v17
	v_add_f16_e32 v22, v41, v23
	v_mul_f16_e32 v23, 0xb836, v21
	v_add_f16_e32 v8, v8, v9
	v_fmamk_f16 v9, v3, 0xb5c8, v38
	v_fma_f16 v41, v11, 0x3b76, -v42
	v_fmac_f16_e32 v38, 0x35c8, v3
	v_fmamk_f16 v42, v11, 0xbacd, v23
	v_mul_f16_e32 v43, 0xbacd, v15
	v_add_f16_e32 v9, v9, v12
	v_add_f16_e32 v12, v41, v13
	;; [unrolled: 1-line block ×4, first 2 shown]
	v_fmamk_f16 v25, v3, 0x3836, v43
	v_mul_f16_e32 v38, 0x3964, v21
	v_fma_f16 v23, v11, 0xbacd, -v23
	v_fmac_f16_e32 v43, 0xb836, v3
	v_mul_f16_e32 v41, 0x39e9, v15
	v_add_f16_e32 v25, v25, v33
	v_fmamk_f16 v33, v11, 0x39e9, v38
	v_add_f16_e32 v23, v23, v26
	v_add_f16_e32 v26, v43, v27
	v_fmamk_f16 v27, v3, 0xb964, v41
	v_mul_f16_e32 v42, 0xba62, v21
	v_add_f16_e32 v28, v33, v28
	v_fma_f16 v33, v11, 0x39e9, -v38
	v_fmac_f16_e32 v41, 0x3964, v3
	v_add_f16_e32 v27, v27, v32
	v_fmamk_f16 v32, v11, 0xb8d2, v42
	v_mul_f16_e32 v38, 0xb8d2, v15
	v_add_f16_e32 v33, v33, v34
	v_add_f16_e32 v34, v41, v36
	v_mul_f16_e32 v36, 0x3b29, v21
	v_add_f16_e32 v29, v32, v29
	v_fmamk_f16 v32, v3, 0x3a62, v38
	v_fmac_f16_e32 v38, 0xba62, v3
	v_mul_f16_e32 v43, 0x3722, v15
	v_add_f16_e32 v20, v51, v20
	v_add_f16_e32 v30, v44, v30
	v_fma_f16 v41, v11, 0xb8d2, -v42
	v_fmamk_f16 v42, v11, 0x3722, v36
	v_add_f16_e32 v19, v32, v19
	v_add_f16_e32 v32, v38, v35
	v_fmamk_f16 v35, v3, 0xbb29, v43
	v_mul_f16_e32 v21, 0xbbb2, v21
	v_mul_f16_e32 v38, 0xb461, v15
	v_fma_f16 v36, v11, 0x3722, -v36
	v_fmac_f16_e32 v43, 0x3b29, v3
	v_add_f16_e32 v20, v49, v20
	v_add_f16_e32 v30, v41, v30
	;; [unrolled: 1-line block ×3, first 2 shown]
	v_fmamk_f16 v35, v11, 0xb461, v21
	v_fmamk_f16 v41, v3, 0x3bb2, v38
	v_add_f16_e32 v36, v36, v37
	v_add_f16_e32 v37, v43, v39
	v_pk_mul_f16 v39, 0x3bf7, v3 op_sel_hi:[0,1]
	v_fma_f16 v11, v11, 0xb461, -v21
	v_fmac_f16_e32 v38, 0xbbb2, v3
	v_mul_u32_u24_e32 v21, 0x223, v0
	v_add_f16_e32 v20, v47, v20
	v_pk_fma_f16 v3, 0x2de8, v15, v39 op_sel_hi:[0,1,1]
	v_pk_fma_f16 v15, 0x2de8, v15, v39 op_sel_hi:[0,1,1] neg_lo:[0,0,1] neg_hi:[0,0,1]
	v_add_f16_e32 v10, v11, v10
	v_add_f16_e32 v11, v38, v14
	v_lshrrev_b32_e32 v14, 16, v21
	v_add_f16_e32 v20, v45, v20
	v_pk_add_f16 v5, v15, v5
	v_add_f16_e32 v4, v35, v4
	v_add_f16_e32 v7, v41, v7
	v_mul_lo_u16 v15, 0x78, v14
	v_add_f16_e32 v20, v42, v20
	v_pk_add_f16 v3, v3, v40
	v_pack_b32_f16 v6, v18, v6
	v_pack_b32_f16 v8, v8, v9
	v_sub_nc_u16 v15, v0, v15
	v_pack_b32_f16 v0, v4, v7
	v_pack_b32_f16 v18, v20, v31
	v_pack_b32_f16 v9, v28, v27
	v_pack_b32_f16 v7, v24, v25
	v_and_b32_e32 v20, 0xffff, v15
	ds_store_2addr_b32 v1, v16, v0 offset1:7
	v_alignbit_b32 v0, v3, v5, 16
	v_alignbit_b32 v5, v5, v3, 16
	v_pack_b32_f16 v19, v29, v19
	v_mad_co_u64_u32 v[3:4], null, s12, v20, 0
	ds_store_2addr_b32 v1, v6, v8 offset0:1 offset1:2
	ds_store_2addr_b32 v1, v7, v9 offset0:3 offset1:4
	;; [unrolled: 1-line block ×4, first 2 shown]
	v_pack_b32_f16 v6, v36, v37
	v_pack_b32_f16 v7, v10, v11
	;; [unrolled: 1-line block ×5, first 2 shown]
	v_mov_b32_e32 v0, v4
	v_pack_b32_f16 v11, v23, v26
	v_pack_b32_f16 v12, v17, v22
	ds_store_2addr_b32 v1, v7, v6 offset0:10 offset1:11
	ds_store_2addr_b32 v1, v9, v8 offset0:12 offset1:13
	;; [unrolled: 1-line block ×3, first 2 shown]
	ds_store_b32 v1, v12 offset:64
	v_mad_co_u64_u32 v[4:5], null, s13, v20, v[0:1]
	v_mul_lo_u16 v0, v15, 17
	v_mul_lo_u32 v1, s14, v14
	v_lshlrev_b32_e32 v7, 2, v14
	global_wb scope:SCOPE_SE
	s_wait_dscnt 0x0
	s_barrier_signal -1
	v_and_b32_e32 v0, 0xffff, v0
	v_lshlrev_b64_e32 v[3:4], 2, v[3:4]
	s_barrier_wait -1
	global_inv scope:SCOPE_SE
	v_lshlrev_b64_e32 v[5:6], 2, v[1:2]
	v_lshlrev_b32_e32 v0, 2, v0
	v_add_nc_u32_e32 v1, s14, v1
	s_wait_alu 0xfffe
	v_add_co_u32 v21, vcc_lo, s0, v3
	s_wait_alu 0xfffd
	v_add_co_ci_u32_e32 v22, vcc_lo, s1, v4, vcc_lo
	v_add3_u32 v8, 0, v0, v7
	v_add3_u32 v0, 0, v7, v0
	v_lshlrev_b64_e32 v[3:4], 2, v[1:2]
	v_add_nc_u32_e32 v1, s14, v1
	ds_load_2addr_b32 v[7:8], v8 offset1:1
	ds_load_2addr_b32 v[9:10], v0 offset0:2 offset1:3
	v_add_co_u32 v5, vcc_lo, v21, v5
	v_lshlrev_b64_e32 v[11:12], 2, v[1:2]
	v_add_nc_u32_e32 v1, s14, v1
	s_wait_alu 0xfffd
	v_add_co_ci_u32_e32 v6, vcc_lo, v22, v6, vcc_lo
	v_add_co_u32 v3, vcc_lo, v21, v3
	s_delay_alu instid0(VALU_DEP_3)
	v_lshlrev_b64_e32 v[13:14], 2, v[1:2]
	v_add_nc_u32_e32 v1, s14, v1
	s_wait_alu 0xfffd
	v_add_co_ci_u32_e32 v4, vcc_lo, v22, v4, vcc_lo
	v_add_co_u32 v11, vcc_lo, v21, v11
	s_wait_alu 0xfffd
	v_add_co_ci_u32_e32 v12, vcc_lo, v22, v12, vcc_lo
	v_lshlrev_b64_e32 v[15:16], 2, v[1:2]
	v_add_nc_u32_e32 v1, s14, v1
	v_add_co_u32 v13, vcc_lo, v21, v13
	s_wait_alu 0xfffd
	v_add_co_ci_u32_e32 v14, vcc_lo, v22, v14, vcc_lo
	ds_load_2addr_b32 v[17:18], v0 offset0:4 offset1:5
	ds_load_2addr_b32 v[19:20], v0 offset0:6 offset1:7
	s_wait_dscnt 0x3
	s_clause 0x1
	global_store_b32 v[5:6], v7, off
	global_store_b32 v[3:4], v8, off
	s_wait_dscnt 0x2
	s_clause 0x1
	global_store_b32 v[11:12], v9, off
	global_store_b32 v[13:14], v10, off
	v_lshlrev_b64_e32 v[3:4], 2, v[1:2]
	v_add_nc_u32_e32 v1, s14, v1
	v_add_co_u32 v5, vcc_lo, v21, v15
	s_wait_alu 0xfffd
	v_add_co_ci_u32_e32 v6, vcc_lo, v22, v16, vcc_lo
	s_delay_alu instid0(VALU_DEP_3) | instskip(SKIP_4) | instid1(VALU_DEP_3)
	v_lshlrev_b64_e32 v[7:8], 2, v[1:2]
	v_add_nc_u32_e32 v1, s14, v1
	v_add_co_u32 v3, vcc_lo, v21, v3
	s_wait_alu 0xfffd
	v_add_co_ci_u32_e32 v4, vcc_lo, v22, v4, vcc_lo
	v_lshlrev_b64_e32 v[9:10], 2, v[1:2]
	v_add_nc_u32_e32 v1, s14, v1
	v_add_co_u32 v7, vcc_lo, v21, v7
	s_wait_alu 0xfffd
	v_add_co_ci_u32_e32 v8, vcc_lo, v22, v8, vcc_lo
	s_delay_alu instid0(VALU_DEP_4)
	v_add_co_u32 v9, vcc_lo, v21, v9
	v_lshlrev_b64_e32 v[11:12], 2, v[1:2]
	v_add_nc_u32_e32 v1, s14, v1
	s_wait_alu 0xfffd
	v_add_co_ci_u32_e32 v10, vcc_lo, v22, v10, vcc_lo
	s_wait_dscnt 0x1
	s_clause 0x1
	global_store_b32 v[5:6], v17, off
	global_store_b32 v[3:4], v18, off
	s_wait_dscnt 0x0
	s_clause 0x1
	global_store_b32 v[7:8], v19, off
	global_store_b32 v[9:10], v20, off
	ds_load_2addr_b32 v[7:8], v0 offset0:8 offset1:9
	ds_load_2addr_b32 v[9:10], v0 offset0:10 offset1:11
	v_lshlrev_b64_e32 v[3:4], 2, v[1:2]
	v_add_nc_u32_e32 v1, s14, v1
	v_add_co_u32 v5, vcc_lo, v21, v11
	s_wait_alu 0xfffd
	v_add_co_ci_u32_e32 v6, vcc_lo, v22, v12, vcc_lo
	s_delay_alu instid0(VALU_DEP_3) | instskip(SKIP_4) | instid1(VALU_DEP_3)
	v_lshlrev_b64_e32 v[11:12], 2, v[1:2]
	v_add_nc_u32_e32 v1, s14, v1
	v_add_co_u32 v3, vcc_lo, v21, v3
	s_wait_alu 0xfffd
	v_add_co_ci_u32_e32 v4, vcc_lo, v22, v4, vcc_lo
	v_lshlrev_b64_e32 v[13:14], 2, v[1:2]
	v_add_nc_u32_e32 v1, s14, v1
	v_add_co_u32 v11, vcc_lo, v21, v11
	s_wait_alu 0xfffd
	v_add_co_ci_u32_e32 v12, vcc_lo, v22, v12, vcc_lo
	s_delay_alu instid0(VALU_DEP_3)
	v_lshlrev_b64_e32 v[15:16], 2, v[1:2]
	v_add_nc_u32_e32 v1, s14, v1
	v_add_co_u32 v13, vcc_lo, v21, v13
	s_wait_alu 0xfffd
	v_add_co_ci_u32_e32 v14, vcc_lo, v22, v14, vcc_lo
	ds_load_2addr_b32 v[17:18], v0 offset0:12 offset1:13
	ds_load_2addr_b32 v[19:20], v0 offset0:14 offset1:15
	s_wait_dscnt 0x3
	s_clause 0x1
	global_store_b32 v[5:6], v7, off
	global_store_b32 v[3:4], v8, off
	s_wait_dscnt 0x2
	s_clause 0x1
	global_store_b32 v[11:12], v9, off
	global_store_b32 v[13:14], v10, off
	v_lshlrev_b64_e32 v[3:4], 2, v[1:2]
	v_add_nc_u32_e32 v1, s14, v1
	ds_load_b32 v11, v0 offset:64
	v_add_co_u32 v5, vcc_lo, v21, v15
	s_wait_alu 0xfffd
	v_add_co_ci_u32_e32 v6, vcc_lo, v22, v16, vcc_lo
	v_lshlrev_b64_e32 v[7:8], 2, v[1:2]
	v_add_nc_u32_e32 v1, s14, v1
	v_add_co_u32 v3, vcc_lo, v21, v3
	s_wait_alu 0xfffd
	v_add_co_ci_u32_e32 v4, vcc_lo, v22, v4, vcc_lo
	s_delay_alu instid0(VALU_DEP_3) | instskip(SKIP_4) | instid1(VALU_DEP_3)
	v_lshlrev_b64_e32 v[9:10], 2, v[1:2]
	v_add_nc_u32_e32 v1, s14, v1
	v_add_co_u32 v7, vcc_lo, v21, v7
	s_wait_alu 0xfffd
	v_add_co_ci_u32_e32 v8, vcc_lo, v22, v8, vcc_lo
	v_lshlrev_b64_e32 v[0:1], 2, v[1:2]
	v_add_co_u32 v9, vcc_lo, v21, v9
	s_wait_alu 0xfffd
	v_add_co_ci_u32_e32 v10, vcc_lo, v22, v10, vcc_lo
	s_delay_alu instid0(VALU_DEP_3)
	v_add_co_u32 v0, vcc_lo, v21, v0
	s_wait_alu 0xfffd
	v_add_co_ci_u32_e32 v1, vcc_lo, v22, v1, vcc_lo
	s_wait_dscnt 0x2
	s_clause 0x1
	global_store_b32 v[5:6], v17, off
	global_store_b32 v[3:4], v18, off
	s_wait_dscnt 0x1
	s_clause 0x1
	global_store_b32 v[7:8], v19, off
	global_store_b32 v[9:10], v20, off
	s_wait_dscnt 0x0
	global_store_b32 v[0:1], v11, off
	s_nop 0
	s_sendmsg sendmsg(MSG_DEALLOC_VGPRS)
	s_endpgm
	.section	.rodata,"a",@progbits
	.p2align	6, 0x0
	.amdhsa_kernel fft_rtc_back_len17_factors_17_wgs_120_tpt_1_half_op_CI_CI_sbrc_aligned
		.amdhsa_group_segment_fixed_size 0
		.amdhsa_private_segment_fixed_size 0
		.amdhsa_kernarg_size 104
		.amdhsa_user_sgpr_count 2
		.amdhsa_user_sgpr_dispatch_ptr 0
		.amdhsa_user_sgpr_queue_ptr 0
		.amdhsa_user_sgpr_kernarg_segment_ptr 1
		.amdhsa_user_sgpr_dispatch_id 0
		.amdhsa_user_sgpr_private_segment_size 0
		.amdhsa_wavefront_size32 1
		.amdhsa_uses_dynamic_stack 0
		.amdhsa_enable_private_segment 0
		.amdhsa_system_sgpr_workgroup_id_x 1
		.amdhsa_system_sgpr_workgroup_id_y 0
		.amdhsa_system_sgpr_workgroup_id_z 0
		.amdhsa_system_sgpr_workgroup_info 0
		.amdhsa_system_vgpr_workitem_id 0
		.amdhsa_next_free_vgpr 66
		.amdhsa_next_free_sgpr 48
		.amdhsa_reserve_vcc 1
		.amdhsa_float_round_mode_32 0
		.amdhsa_float_round_mode_16_64 0
		.amdhsa_float_denorm_mode_32 3
		.amdhsa_float_denorm_mode_16_64 3
		.amdhsa_fp16_overflow 0
		.amdhsa_workgroup_processor_mode 1
		.amdhsa_memory_ordered 1
		.amdhsa_forward_progress 0
		.amdhsa_round_robin_scheduling 0
		.amdhsa_exception_fp_ieee_invalid_op 0
		.amdhsa_exception_fp_denorm_src 0
		.amdhsa_exception_fp_ieee_div_zero 0
		.amdhsa_exception_fp_ieee_overflow 0
		.amdhsa_exception_fp_ieee_underflow 0
		.amdhsa_exception_fp_ieee_inexact 0
		.amdhsa_exception_int_div_zero 0
	.end_amdhsa_kernel
	.text
.Lfunc_end0:
	.size	fft_rtc_back_len17_factors_17_wgs_120_tpt_1_half_op_CI_CI_sbrc_aligned, .Lfunc_end0-fft_rtc_back_len17_factors_17_wgs_120_tpt_1_half_op_CI_CI_sbrc_aligned
                                        ; -- End function
	.section	.AMDGPU.csdata,"",@progbits
; Kernel info:
; codeLenInByte = 9796
; NumSgprs: 50
; NumVgprs: 66
; ScratchSize: 0
; MemoryBound: 0
; FloatMode: 240
; IeeeMode: 1
; LDSByteSize: 0 bytes/workgroup (compile time only)
; SGPRBlocks: 6
; VGPRBlocks: 8
; NumSGPRsForWavesPerEU: 50
; NumVGPRsForWavesPerEU: 66
; Occupancy: 16
; WaveLimiterHint : 1
; COMPUTE_PGM_RSRC2:SCRATCH_EN: 0
; COMPUTE_PGM_RSRC2:USER_SGPR: 2
; COMPUTE_PGM_RSRC2:TRAP_HANDLER: 0
; COMPUTE_PGM_RSRC2:TGID_X_EN: 1
; COMPUTE_PGM_RSRC2:TGID_Y_EN: 0
; COMPUTE_PGM_RSRC2:TGID_Z_EN: 0
; COMPUTE_PGM_RSRC2:TIDIG_COMP_CNT: 0
	.text
	.p2alignl 7, 3214868480
	.fill 96, 4, 3214868480
	.type	__hip_cuid_f06e8a118c3623a1,@object ; @__hip_cuid_f06e8a118c3623a1
	.section	.bss,"aw",@nobits
	.globl	__hip_cuid_f06e8a118c3623a1
__hip_cuid_f06e8a118c3623a1:
	.byte	0                               ; 0x0
	.size	__hip_cuid_f06e8a118c3623a1, 1

	.ident	"AMD clang version 19.0.0git (https://github.com/RadeonOpenCompute/llvm-project roc-6.4.0 25133 c7fe45cf4b819c5991fe208aaa96edf142730f1d)"
	.section	".note.GNU-stack","",@progbits
	.addrsig
	.addrsig_sym __hip_cuid_f06e8a118c3623a1
	.amdgpu_metadata
---
amdhsa.kernels:
  - .args:
      - .actual_access:  read_only
        .address_space:  global
        .offset:         0
        .size:           8
        .value_kind:     global_buffer
      - .offset:         8
        .size:           8
        .value_kind:     by_value
      - .actual_access:  read_only
        .address_space:  global
        .offset:         16
        .size:           8
        .value_kind:     global_buffer
      - .actual_access:  read_only
        .address_space:  global
        .offset:         24
        .size:           8
        .value_kind:     global_buffer
      - .actual_access:  read_only
        .address_space:  global
        .offset:         32
        .size:           8
        .value_kind:     global_buffer
      - .offset:         40
        .size:           8
        .value_kind:     by_value
      - .actual_access:  read_only
        .address_space:  global
        .offset:         48
        .size:           8
        .value_kind:     global_buffer
      - .actual_access:  read_only
        .address_space:  global
        .offset:         56
        .size:           8
        .value_kind:     global_buffer
      - .offset:         64
        .size:           4
        .value_kind:     by_value
      - .actual_access:  read_only
        .address_space:  global
        .offset:         72
        .size:           8
        .value_kind:     global_buffer
      - .actual_access:  read_only
        .address_space:  global
        .offset:         80
        .size:           8
        .value_kind:     global_buffer
      - .actual_access:  read_only
        .address_space:  global
        .offset:         88
        .size:           8
        .value_kind:     global_buffer
      - .actual_access:  write_only
        .address_space:  global
        .offset:         96
        .size:           8
        .value_kind:     global_buffer
    .group_segment_fixed_size: 0
    .kernarg_segment_align: 8
    .kernarg_segment_size: 104
    .language:       OpenCL C
    .language_version:
      - 2
      - 0
    .max_flat_workgroup_size: 120
    .name:           fft_rtc_back_len17_factors_17_wgs_120_tpt_1_half_op_CI_CI_sbrc_aligned
    .private_segment_fixed_size: 0
    .sgpr_count:     50
    .sgpr_spill_count: 0
    .symbol:         fft_rtc_back_len17_factors_17_wgs_120_tpt_1_half_op_CI_CI_sbrc_aligned.kd
    .uniform_work_group_size: 1
    .uses_dynamic_stack: false
    .vgpr_count:     66
    .vgpr_spill_count: 0
    .wavefront_size: 32
    .workgroup_processor_mode: 1
amdhsa.target:   amdgcn-amd-amdhsa--gfx1201
amdhsa.version:
  - 1
  - 2
...

	.end_amdgpu_metadata
